;; amdgpu-corpus repo=zjin-lcf/HeCBench kind=compiled arch=gfx1030 opt=O3
	.amdgcn_target "amdgcn-amd-amdhsa--gfx1030"
	.amdhsa_code_object_version 6
	.text
	.protected	_Z6lookupPKiPKdS0_PK16NuclideGridPointPiS2_S0_illiii ; -- Begin function _Z6lookupPKiPKdS0_PK16NuclideGridPointPiS2_S0_illiii
	.globl	_Z6lookupPKiPKdS0_PK16NuclideGridPointPiS2_S0_illiii
	.p2align	8
	.type	_Z6lookupPKiPKdS0_PK16NuclideGridPointPiS2_S0_illiii,@function
_Z6lookupPKiPKdS0_PK16NuclideGridPointPiS2_S0_illiii: ; @_Z6lookupPKiPKdS0_PK16NuclideGridPointPiS2_S0_illiii
; %bb.0:
	s_clause 0x1
	s_load_dword s0, s[4:5], 0x6c
	s_load_dword s1, s[4:5], 0x38
	s_waitcnt lgkmcnt(0)
	s_and_b32 s0, s0, 0xffff
	v_mad_u64_u32 v[0:1], null, s6, s0, v[0:1]
	s_mov_b32 s0, exec_lo
	v_cmpx_gt_i32_e64 s1, v0
	s_cbranch_execz .LBB0_78
; %bb.1:
	s_clause 0x3
	s_load_dwordx4 s[12:15], s[4:5], 0x0
	s_load_dwordx2 s[16:17], s[4:5], 0x10
	s_load_dwordx4 s[8:11], s[4:5], 0x20
	s_load_dwordx2 s[20:21], s[4:5], 0x30
	v_mov_b32_e32 v1, 0x4a2bcaa7
	v_mov_b32_e32 v4, 0x45df23cb
	s_mov_b32 s3, 0
	s_mov_b32 s2, exec_lo
	v_cmpx_ne_u32_e32 0, v0
	s_cbranch_execz .LBB0_7
; %bb.2:
	v_lshlrev_b32_e32 v3, 1, v0
	v_mov_b32_e32 v1, 1
	v_mov_b32_e32 v5, 0
	;; [unrolled: 1-line block ×4, first 2 shown]
	v_ashrrev_i32_e32 v4, 31, v3
	s_mov_b32 s7, 0x26f19d38
	s_mov_b32 s6, 0xe48e2825
	s_mov_b64 s[0:1], 1
	v_and_b32_e32 v4, 0x7fffffff, v4
	s_inst_prefetch 0x1
	s_branch .LBB0_4
	.p2align	6
.LBB0_3:                                ;   in Loop: Header=BB0_4 Depth=1
	s_or_b32 exec_lo, exec_lo, s18
	s_add_u32 s18, s6, 1
	v_lshrrev_b64 v[7:8], 1, v[3:4]
	s_addc_u32 s19, s7, 0
	s_mul_i32 s1, s18, s1
	s_mul_hi_u32 s22, s18, s0
	s_mul_i32 s19, s19, s0
	s_add_i32 s1, s22, s1
	v_cmp_gt_u64_e32 vcc_lo, 2, v[3:4]
	s_add_i32 s1, s1, s19
	s_mul_i32 s7, s6, s7
	s_mul_hi_u32 s19, s6, s6
	v_mov_b32_e32 v3, v7
	s_mul_i32 s0, s18, s0
	s_add_i32 s18, s19, s7
	v_mov_b32_e32 v4, v8
	s_add_i32 s7, s18, s7
	s_or_b32 s3, vcc_lo, s3
	s_mul_i32 s6, s6, s6
	s_andn2_b32 exec_lo, exec_lo, s3
	s_cbranch_execz .LBB0_6
.LBB0_4:                                ; =>This Inner Loop Header: Depth=1
	v_and_b32_e32 v7, 1, v3
	s_mov_b32 s18, exec_lo
	v_cmpx_eq_u32_e32 1, v7
	s_cbranch_execz .LBB0_3
; %bb.5:                                ;   in Loop: Header=BB0_4 Depth=1
	v_mad_u64_u32 v[7:8], null, s6, v5, s[0:1]
	v_mul_lo_u32 v6, s6, v6
	v_mul_lo_u32 v5, s7, v5
	;; [unrolled: 1-line block ×4, first 2 shown]
	v_mad_u64_u32 v[1:2], null, s6, v1, 0
	v_add3_u32 v8, v5, v8, v6
	v_mov_b32_e32 v5, v7
	v_add3_u32 v2, v2, v10, v9
	v_mov_b32_e32 v6, v8
	s_branch .LBB0_3
.LBB0_6:
	s_inst_prefetch 0x2
	s_or_b32 exec_lo, exec_lo, s3
	v_mad_u64_u32 v[3:4], null, 0x42e, v1, v[5:6]
	v_mov_b32_e32 v1, v4
	v_mul_lo_u32 v4, 0x26f19d38, v3
	v_mad_u64_u32 v[1:2], null, 0x42e, v2, v[1:2]
	v_mul_lo_u32 v5, 0xe48e2825, v1
	v_mad_u64_u32 v[1:2], null, 0xe48e2825, v3, 1
	v_add3_u32 v2, v5, v2, v4
	v_and_b32_e32 v4, 0x7fffffff, v2
.LBB0_7:
	s_or_b32 exec_lo, exec_lo, s2
	v_mad_u64_u32 v[2:3], null, 0xe48e2825, v1, 1
	v_mul_lo_u32 v5, 0x26f19d38, v1
	v_mul_lo_u32 v6, 0xe48e2825, v4
	s_mov_b32 s0, 0x76c8b439
	s_mov_b32 s1, 0x3faa9fbe
	s_load_dwordx2 s[18:19], s[4:5], 0x18
	v_mov_b32_e32 v15, 1
	v_add3_u32 v3, v6, v3, v5
	v_and_b32_e32 v3, 0x7fffffff, v3
	v_cvt_f64_u32_e32 v[5:6], v3
	v_cvt_f64_u32_e32 v[2:3], v2
	v_ldexp_f64 v[5:6], v[5:6], 32
	v_add_f64 v[2:3], v[5:6], v[2:3]
	v_ldexp_f64 v[2:3], v[2:3], 0xffffffc1
	v_cmp_ngt_f64_e32 vcc_lo, s[0:1], v[2:3]
	s_and_saveexec_b32 s0, vcc_lo
	s_cbranch_execz .LBB0_29
; %bb.8:
	v_mov_b32_e32 v15, 2
	s_mov_b32 s2, 0x6872b021
	s_mov_b32 s3, 0x3fd4ed91
	s_mov_b32 s1, exec_lo
	v_cmpx_ngt_f64_e32 s[2:3], v[2:3]
	s_cbranch_execz .LBB0_28
; %bb.9:
	s_mov_b32 s2, 0x24dd2f1b
	s_mov_b32 s3, 0x3fdd8106
	v_mov_b32_e32 v15, 3
	v_cmp_ngt_f64_e32 vcc_lo, s[2:3], v[2:3]
	s_and_saveexec_b32 s2, vcc_lo
	s_cbranch_execz .LBB0_27
; %bb.10:
	v_mov_b32_e32 v15, 4
	s_mov_b32 s6, 0x7ae147af
	s_mov_b32 s7, 0x3fe3ae14
	s_mov_b32 s3, exec_lo
	v_cmpx_ngt_f64_e32 s[6:7], v[2:3]
	s_cbranch_execz .LBB0_26
; %bb.11:
	s_mov_b32 s6, 0x353f7cee
	s_mov_b32 s7, 0x3fe5ba5e
	v_mov_b32_e32 v15, 5
	;; [unrolled: 14-line block ×5, first 2 shown]
	v_cmp_ngt_f64_e32 vcc_lo, s[26:27], v[2:3]
	s_and_saveexec_b32 s26, vcc_lo
; %bb.18:
	v_mov_b32_e32 v15, 0
; %bb.19:
	s_or_b32 exec_lo, exec_lo, s26
.LBB0_20:
	s_or_b32 exec_lo, exec_lo, s25
.LBB0_21:
	s_or_b32 exec_lo, exec_lo, s24
.LBB0_22:
	s_or_b32 exec_lo, exec_lo, s23
.LBB0_23:
	s_or_b32 exec_lo, exec_lo, s22
.LBB0_24:
	s_or_b32 exec_lo, exec_lo, s7
.LBB0_25:
	s_or_b32 exec_lo, exec_lo, s6
.LBB0_26:
	s_or_b32 exec_lo, exec_lo, s3
.LBB0_27:
	s_or_b32 exec_lo, exec_lo, s2
.LBB0_28:
	s_or_b32 exec_lo, exec_lo, s1
.LBB0_29:
	s_or_b32 exec_lo, exec_lo, s0
	v_cvt_f64_u32_e32 v[2:3], v4
	v_cvt_f64_u32_e32 v[4:5], v1
	s_load_dwordx8 s[0:7], s[4:5], 0x40
	s_waitcnt lgkmcnt(0)
	s_cmp_lt_i32 s4, 2
	v_ldexp_f64 v[2:3], v[2:3], 32
	v_add_f64 v[1:2], v[2:3], v[4:5]
	v_ldexp_f64 v[1:2], v[1:2], 0xffffffc1
	s_cbranch_scc1 .LBB0_33
; %bb.30:
	v_mov_b32_e32 v13, -1
	v_mov_b32_e32 v14, -1
	s_cmp_eq_u32 s4, 2
	s_cbranch_scc0 .LBB0_32
; %bb.31:
	v_cvt_f64_i32_e32 v[3:4], s5
	v_div_scale_f64 v[5:6], null, v[3:4], v[3:4], 1.0
	v_div_scale_f64 v[11:12], vcc_lo, 1.0, v[3:4], 1.0
	v_rcp_f64_e32 v[7:8], v[5:6]
	v_fma_f64 v[9:10], -v[5:6], v[7:8], 1.0
	v_fma_f64 v[7:8], v[7:8], v[9:10], v[7:8]
	v_fma_f64 v[9:10], -v[5:6], v[7:8], 1.0
	v_fma_f64 v[7:8], v[7:8], v[9:10], v[7:8]
	v_mul_f64 v[9:10], v[11:12], v[7:8]
	v_fma_f64 v[5:6], -v[5:6], v[9:10], v[11:12]
	v_div_fmas_f64 v[5:6], v[5:6], v[7:8], v[9:10]
	v_div_fixup_f64 v[3:4], v[5:6], v[3:4], 1.0
	v_div_scale_f64 v[5:6], null, v[3:4], v[3:4], v[1:2]
	v_div_scale_f64 v[11:12], vcc_lo, v[1:2], v[3:4], v[1:2]
	v_rcp_f64_e32 v[7:8], v[5:6]
	v_fma_f64 v[9:10], -v[5:6], v[7:8], 1.0
	v_fma_f64 v[7:8], v[7:8], v[9:10], v[7:8]
	v_fma_f64 v[9:10], -v[5:6], v[7:8], 1.0
	v_fma_f64 v[7:8], v[7:8], v[9:10], v[7:8]
	v_mul_f64 v[9:10], v[11:12], v[7:8]
	v_fma_f64 v[5:6], -v[5:6], v[9:10], v[11:12]
	v_div_fmas_f64 v[5:6], v[5:6], v[7:8], v[9:10]
	v_div_fixup_f64 v[3:4], v[5:6], v[3:4], v[1:2]
	v_trunc_f64_e32 v[3:4], v[3:4]
	v_ldexp_f64 v[5:6], v[3:4], 0xffffffe0
	v_floor_f64_e32 v[5:6], v[5:6]
	v_fma_f64 v[3:4], 0xc1f00000, v[5:6], v[3:4]
	v_cvt_i32_f64_e32 v14, v[5:6]
	v_cvt_u32_f64_e32 v13, v[3:4]
.LBB0_32:
	s_cbranch_execz .LBB0_34
	s_branch .LBB0_39
.LBB0_33:
                                        ; implicit-def: $vgpr13_vgpr14
.LBB0_34:
	v_mov_b32_e32 v13, -1
	v_mov_b32_e32 v14, -1
	s_cmp_lg_u32 s4, 0
	s_cbranch_scc1 .LBB0_39
; %bb.35:
	s_mul_i32 s7, s2, s1
	s_mul_hi_u32 s22, s2, s0
	s_mul_i32 s23, s3, s0
	s_add_i32 s7, s22, s7
	s_mul_i32 s22, s2, s0
	s_add_i32 s23, s7, s23
	v_mov_b32_e32 v13, 0
	v_cmp_lt_i64_e64 s7, s[22:23], 3
	v_mov_b32_e32 v14, 0
	s_and_b32 vcc_lo, exec_lo, s7
	s_cbranch_vccnz .LBB0_39
; %bb.36:
	s_add_u32 s22, s22, -1
	s_addc_u32 s23, s23, -1
	v_mov_b32_e32 v5, s22
	v_mov_b32_e32 v13, 0
	;; [unrolled: 1-line block ×6, first 2 shown]
	s_mov_b32 s7, 0
	.p2align	6
.LBB0_37:                               ; =>This Inner Loop Header: Depth=1
	v_lshrrev_b64 v[5:6], 1, v[5:6]
	v_add_co_u32 v5, vcc_lo, v5, v13
	v_add_co_ci_u32_e64 v6, null, v6, v14, vcc_lo
	v_lshlrev_b64 v[7:8], 3, v[5:6]
	v_add_co_u32 v7, vcc_lo, s10, v7
	v_add_co_ci_u32_e64 v8, null, s11, v8, vcc_lo
	global_load_dwordx2 v[7:8], v[7:8], off
	s_waitcnt vmcnt(0)
	v_cmp_gt_f64_e32 vcc_lo, v[7:8], v[1:2]
	v_cndmask_b32_e32 v3, v3, v5, vcc_lo
	v_cndmask_b32_e32 v13, v5, v13, vcc_lo
	;; [unrolled: 1-line block ×4, first 2 shown]
	v_sub_co_u32 v5, vcc_lo, v3, v13
	v_sub_co_ci_u32_e64 v6, null, v4, v14, vcc_lo
	v_cmp_gt_i64_e32 vcc_lo, 2, v[5:6]
	s_or_b32 s7, vcc_lo, s7
	s_andn2_b32 exec_lo, exec_lo, s7
	s_cbranch_execnz .LBB0_37
; %bb.38:
	s_or_b32 exec_lo, exec_lo, s7
.LBB0_39:
	v_lshlrev_b32_e32 v3, 2, v15
	v_mov_b32_e32 v5, 0
	v_mov_b32_e32 v7, 0
	;; [unrolled: 1-line block ×4, first 2 shown]
	global_load_dword v31, v3, s[12:13]
	v_mov_b32_e32 v3, 0
	v_mov_b32_e32 v4, 0
	;; [unrolled: 1-line block ×6, first 2 shown]
	s_mov_b32 s23, 0
	s_mov_b32 s22, exec_lo
	s_waitcnt vmcnt(0)
	v_cmpx_lt_i32_e32 0, v31
	s_cbranch_execz .LBB0_77
; %bb.40:
	v_mul_lo_u32 v3, v14, s0
	v_mul_lo_u32 v4, v13, s1
	v_mad_u64_u32 v[5:6], null, v13, s0, 0
	v_mul_lo_u32 v32, v15, s6
	s_add_u32 s6, s2, -1
	s_addc_u32 s7, s3, -1
	s_add_i32 s10, s5, -1
	s_lshl_b64 s[12:13], s[0:1], 2
	s_ashr_i32 s11, s10, 31
	v_add3_u32 v6, v6, v4, v3
	v_mov_b32_e32 v3, 0
	v_cmp_ne_u64_e64 s0, s[10:11], v[13:14]
	v_mov_b32_e32 v7, 0
	v_mov_b32_e32 v9, 0
	v_lshlrev_b64 v[5:6], 2, v[5:6]
	v_mov_b32_e32 v11, 0
	v_mov_b32_e32 v4, 0
	;; [unrolled: 1-line block ×5, first 2 shown]
	v_add_co_u32 v33, vcc_lo, s20, v5
	v_add_co_ci_u32_e64 v34, null, s21, v6, vcc_lo
	v_cmp_gt_i64_e64 s20, s[6:7], 1
	v_add_co_u32 v35, vcc_lo, v33, s12
	v_mov_b32_e32 v5, 0
	v_add_co_ci_u32_e64 v36, null, s13, v34, vcc_lo
	v_mov_b32_e32 v6, 0
	v_mov_b32_e32 v13, 0
	s_add_i32 s5, s2, -1
	s_add_u32 s24, s2, -2
	s_addc_u32 s21, s3, -1
	s_ashr_i32 s10, s3, 31
	s_mov_b32 s25, 0
	s_branch .LBB0_43
.LBB0_41:                               ;   in Loop: Header=BB0_43 Depth=1
	s_or_b32 exec_lo, exec_lo, s1
.LBB0_42:                               ;   in Loop: Header=BB0_43 Depth=1
	v_mad_u64_u32 v[29:30], null, v21, 48, s[18:19]
	s_add_i32 s25, s25, 1
	v_mov_b32_e32 v14, v30
	s_waitcnt vmcnt(0)
	v_mad_u64_u32 v[17:18], null, v22, 48, v[14:15]
	v_mov_b32_e32 v30, v17
	s_clause 0x5
	global_load_dwordx4 v[17:20], v[29:30], off offset:48
	global_load_dwordx4 v[21:24], v[29:30], off
	global_load_dwordx4 v[25:28], v[29:30], off offset:16
	global_load_dwordx4 v[37:40], v[29:30], off offset:64
	;; [unrolled: 1-line block ×4, first 2 shown]
	s_waitcnt vmcnt(5)
	v_add_f64 v[29:30], v[17:18], -v[1:2]
	s_waitcnt vmcnt(4)
	v_add_f64 v[17:18], v[17:18], -v[21:22]
	v_add_f64 v[23:24], v[19:20], -v[23:24]
	v_div_scale_f64 v[21:22], null, v[17:18], v[17:18], v[29:30]
	v_div_scale_f64 v[53:54], vcc_lo, v[29:30], v[17:18], v[29:30]
	v_rcp_f64_e32 v[49:50], v[21:22]
	v_fma_f64 v[51:52], -v[21:22], v[49:50], 1.0
	v_fma_f64 v[49:50], v[49:50], v[51:52], v[49:50]
	v_fma_f64 v[51:52], -v[21:22], v[49:50], 1.0
	v_fma_f64 v[49:50], v[49:50], v[51:52], v[49:50]
	v_mul_f64 v[51:52], v[53:54], v[49:50]
	v_fma_f64 v[21:22], -v[21:22], v[51:52], v[53:54]
	v_div_fmas_f64 v[21:22], v[21:22], v[49:50], v[51:52]
	v_cmp_eq_u32_e32 vcc_lo, s25, v31
	s_or_b32 s23, vcc_lo, s23
	v_div_fixup_f64 v[17:18], v[21:22], v[17:18], v[29:30]
	s_waitcnt vmcnt(2)
	v_add_f64 v[21:22], v[37:38], -v[25:26]
	v_add_f64 v[25:26], v[39:40], -v[27:28]
	s_waitcnt vmcnt(0)
	v_add_f64 v[27:28], v[41:42], -v[45:46]
	v_add_f64 v[29:30], v[43:44], -v[47:48]
	v_fma_f64 v[19:20], -v[17:18], v[23:24], v[19:20]
	v_fma_f64 v[21:22], -v[17:18], v[21:22], v[37:38]
	;; [unrolled: 1-line block ×5, first 2 shown]
	v_fma_f64 v[11:12], v[15:16], v[19:20], v[11:12]
	v_fma_f64 v[9:10], v[15:16], v[21:22], v[9:10]
	;; [unrolled: 1-line block ×5, first 2 shown]
	s_andn2_b32 exec_lo, exec_lo, s23
	s_cbranch_execz .LBB0_76
.LBB0_43:                               ; =>This Loop Header: Depth=1
                                        ;     Child Loop BB0_50 Depth 2
                                        ;     Child Loop BB0_63 Depth 2
	v_add_nc_u32_e32 v14, s25, v32
	s_mov_b32 s12, -1
	s_mov_b32 s1, 0
	s_cmp_lt_i32 s4, 1
	s_mov_b32 s11, 0
	v_ashrrev_i32_e32 v15, 31, v14
                                        ; implicit-def: $vgpr21_vgpr22
	v_lshlrev_b64 v[16:17], 2, v[14:15]
	v_lshlrev_b64 v[14:15], 3, v[14:15]
	v_add_co_u32 v16, vcc_lo, s16, v16
	v_add_co_ci_u32_e64 v17, null, s17, v17, vcc_lo
	v_add_co_u32 v14, vcc_lo, s14, v14
	v_add_co_ci_u32_e64 v15, null, s15, v15, vcc_lo
	global_load_dword v17, v[16:17], off
	global_load_dwordx2 v[15:16], v[14:15], off
	s_waitcnt vmcnt(1)
	v_ashrrev_i32_e32 v18, 31, v17
	s_cbranch_scc0 .LBB0_47
; %bb.44:                               ;   in Loop: Header=BB0_43 Depth=1
	s_and_b32 vcc_lo, exec_lo, s12
	s_cbranch_vccnz .LBB0_54
.LBB0_45:                               ;   in Loop: Header=BB0_43 Depth=1
	v_lshlrev_b64 v[19:20], 2, v[17:18]
	s_andn2_b32 vcc_lo, exec_lo, s11
	s_cbranch_vccz .LBB0_55
.LBB0_46:                               ;   in Loop: Header=BB0_43 Depth=1
	s_and_b32 vcc_lo, exec_lo, s1
	s_cbranch_vccz .LBB0_42
	s_branch .LBB0_72
.LBB0_47:                               ;   in Loop: Header=BB0_43 Depth=1
	s_cmp_eq_u32 s4, 1
	s_mov_b32 s11, -1
                                        ; implicit-def: $vgpr21_vgpr22
	s_cbranch_scc0 .LBB0_53
; %bb.48:                               ;   in Loop: Header=BB0_43 Depth=1
	v_mul_lo_u32 v14, s3, v17
	v_mul_lo_u32 v21, s2, v18
	v_mad_u64_u32 v[19:20], null, s2, v17, 0
	s_andn2_b32 vcc_lo, exec_lo, s20
	v_add3_u32 v20, v20, v21, v14
	s_cbranch_vccnz .LBB0_52
; %bb.49:                               ;   in Loop: Header=BB0_43 Depth=1
	v_add_co_u32 v14, vcc_lo, v19, s6
	v_mov_b32_e32 v22, s7
	v_add_co_ci_u32_e64 v23, null, s7, v20, vcc_lo
	v_mov_b32_e32 v21, s6
	s_mov_b32 s11, 0
	.p2align	6
.LBB0_50:                               ;   Parent Loop BB0_43 Depth=1
                                        ; =>  This Inner Loop Header: Depth=2
	v_lshrrev_b64 v[21:22], 1, v[21:22]
	v_add_co_u32 v26, vcc_lo, v21, v19
	v_add_co_ci_u32_e64 v27, null, v22, v20, vcc_lo
	v_mad_u64_u32 v[21:22], null, v26, 48, s[18:19]
	v_mad_u64_u32 v[24:25], null, v27, 48, v[22:23]
	v_mov_b32_e32 v22, v24
	global_load_dwordx2 v[21:22], v[21:22], off
	s_waitcnt vmcnt(0)
	v_cmp_gt_f64_e32 vcc_lo, v[21:22], v[1:2]
	v_cndmask_b32_e32 v14, v14, v26, vcc_lo
	v_cndmask_b32_e32 v19, v26, v19, vcc_lo
	;; [unrolled: 1-line block ×4, first 2 shown]
	v_sub_co_u32 v21, vcc_lo, v14, v19
	v_sub_co_ci_u32_e64 v22, null, v23, v20, vcc_lo
	v_cmp_gt_i64_e32 vcc_lo, 2, v[21:22]
	s_or_b32 s11, vcc_lo, s11
	s_andn2_b32 exec_lo, exec_lo, s11
	s_cbranch_execnz .LBB0_50
; %bb.51:                               ;   in Loop: Header=BB0_43 Depth=1
	s_or_b32 exec_lo, exec_lo, s11
.LBB0_52:                               ;   in Loop: Header=BB0_43 Depth=1
	v_cmp_eq_u64_e32 vcc_lo, s[6:7], v[19:20]
	s_mov_b32 s11, 0
	v_cndmask_b32_e64 v14, 0, 1, vcc_lo
	v_sub_co_u32 v21, vcc_lo, v19, v14
	v_subrev_co_ci_u32_e64 v22, null, 0, v20, vcc_lo
.LBB0_53:                               ;   in Loop: Header=BB0_43 Depth=1
	s_branch .LBB0_45
.LBB0_54:                               ;   in Loop: Header=BB0_43 Depth=1
	s_cmp_lg_u32 s4, 0
	s_mov_b32 s1, -1
	s_cselect_b32 s11, -1, 0
	v_lshlrev_b64 v[19:20], 2, v[17:18]
	s_andn2_b32 vcc_lo, exec_lo, s11
	s_cbranch_vccnz .LBB0_46
.LBB0_55:                               ;   in Loop: Header=BB0_43 Depth=1
	v_add_co_u32 v21, vcc_lo, v33, v19
	v_add_co_ci_u32_e64 v22, null, v34, v20, vcc_lo
	v_mov_b32_e32 v29, s5
	global_load_dword v27, v[21:22], off
	s_and_saveexec_b32 s1, s0
	s_cbranch_execz .LBB0_57
; %bb.56:                               ;   in Loop: Header=BB0_43 Depth=1
	v_add_co_u32 v21, vcc_lo, v35, v19
	v_add_co_ci_u32_e64 v22, null, v36, v20, vcc_lo
	global_load_dword v14, v[21:22], off
	s_waitcnt vmcnt(0)
	v_add_nc_u32_e32 v29, 1, v14
.LBB0_57:                               ;   in Loop: Header=BB0_43 Depth=1
	s_or_b32 exec_lo, exec_lo, s1
	v_mul_lo_u32 v14, s3, v17
	v_mul_lo_u32 v23, s2, v18
	v_mad_u64_u32 v[21:22], null, s2, v17, 0
	s_waitcnt vmcnt(0)
	v_ashrrev_i32_e32 v28, 31, v27
	s_mov_b32 s1, exec_lo
	v_add3_u32 v22, v22, v23, v14
	v_add_co_u32 v23, vcc_lo, v21, v27
	v_add_co_ci_u32_e64 v24, null, v22, v28, vcc_lo
	v_mad_u64_u32 v[25:26], null, v23, 48, s[18:19]
	v_mov_b32_e32 v14, v26
	v_mad_u64_u32 v[37:38], null, v24, 48, v[14:15]
	v_mov_b32_e32 v26, v37
	global_load_dwordx2 v[25:26], v[25:26], off
	s_waitcnt vmcnt(0)
	v_cmpx_nle_f64_e32 v[1:2], v[25:26]
	s_cbranch_execz .LBB0_67
; %bb.58:                               ;   in Loop: Header=BB0_43 Depth=1
	v_add_co_u32 v25, vcc_lo, v21, v29
	v_ashrrev_i32_e32 v30, 31, v29
	s_mov_b32 s11, exec_lo
	v_mad_u64_u32 v[37:38], null, v25, 48, s[18:19]
	v_add_co_ci_u32_e64 v26, null, v22, v30, vcc_lo
	v_mov_b32_e32 v14, v38
	v_mad_u64_u32 v[38:39], null, v26, 48, v[14:15]
	global_load_dwordx2 v[37:38], v[37:38], off
	s_waitcnt vmcnt(0)
	v_cmpx_ge_f64_e32 v[1:2], v[37:38]
	s_xor_b32 s11, exec_lo, s11
; %bb.59:                               ;   in Loop: Header=BB0_43 Depth=1
	v_add_co_u32 v23, vcc_lo, v21, s6
	v_add_co_ci_u32_e64 v24, null, s7, v22, vcc_lo
                                        ; implicit-def: $vgpr29_vgpr30
                                        ; implicit-def: $vgpr27_vgpr28
                                        ; implicit-def: $vgpr25_vgpr26
; %bb.60:                               ;   in Loop: Header=BB0_43 Depth=1
	s_andn2_saveexec_b32 s11, s11
	s_cbranch_execz .LBB0_66
; %bb.61:                               ;   in Loop: Header=BB0_43 Depth=1
	v_sub_co_u32 v21, vcc_lo, v29, v27
	v_sub_co_ci_u32_e64 v22, null, v30, v28, vcc_lo
	s_mov_b32 s12, exec_lo
	v_cmpx_lt_i64_e32 1, v[21:22]
	s_cbranch_execz .LBB0_65
; %bb.62:                               ;   in Loop: Header=BB0_43 Depth=1
	s_mov_b32 s13, 0
	.p2align	6
.LBB0_63:                               ;   Parent Loop BB0_43 Depth=1
                                        ; =>  This Inner Loop Header: Depth=2
	v_lshrrev_b64 v[21:22], 1, v[21:22]
	v_add_co_u32 v29, vcc_lo, v21, v23
	v_add_co_ci_u32_e64 v30, null, v22, v24, vcc_lo
	v_mad_u64_u32 v[21:22], null, v29, 48, s[18:19]
	v_mov_b32_e32 v14, v22
	v_mad_u64_u32 v[27:28], null, v30, 48, v[14:15]
	v_mov_b32_e32 v22, v27
	global_load_dwordx2 v[21:22], v[21:22], off
	s_waitcnt vmcnt(0)
	v_cmp_gt_f64_e32 vcc_lo, v[21:22], v[1:2]
	v_cndmask_b32_e32 v25, v25, v29, vcc_lo
	v_cndmask_b32_e32 v23, v29, v23, vcc_lo
	;; [unrolled: 1-line block ×4, first 2 shown]
	v_sub_co_u32 v21, vcc_lo, v25, v23
	v_sub_co_ci_u32_e64 v22, null, v26, v24, vcc_lo
	v_cmp_gt_i64_e32 vcc_lo, 2, v[21:22]
	s_or_b32 s13, vcc_lo, s13
	s_andn2_b32 exec_lo, exec_lo, s13
	s_cbranch_execnz .LBB0_63
; %bb.64:                               ;   in Loop: Header=BB0_43 Depth=1
	s_or_b32 exec_lo, exec_lo, s13
.LBB0_65:                               ;   in Loop: Header=BB0_43 Depth=1
	s_or_b32 exec_lo, exec_lo, s12
.LBB0_66:                               ;   in Loop: Header=BB0_43 Depth=1
	s_or_b32 exec_lo, exec_lo, s11
	v_mov_b32_e32 v21, v23
	v_mov_b32_e32 v22, v24
.LBB0_67:                               ;   in Loop: Header=BB0_43 Depth=1
	s_or_b32 exec_lo, exec_lo, s1
	v_or_b32_e32 v14, s3, v22
                                        ; implicit-def: $vgpr23_vgpr24
	s_mov_b32 s1, exec_lo
	v_cmpx_ne_u64_e32 0, v[13:14]
	s_xor_b32 s26, exec_lo, s1
	s_cbranch_execz .LBB0_69
; %bb.68:                               ;   in Loop: Header=BB0_43 Depth=1
	s_add_u32 s12, s2, s10
	s_mov_b32 s11, s10
	s_addc_u32 s13, s3, s10
	v_ashrrev_i32_e32 v29, 31, v22
	s_xor_b64 s[12:13], s[12:13], s[10:11]
	v_cvt_f32_u32_e32 v14, s12
	v_cvt_f32_u32_e32 v23, s13
	s_sub_u32 s1, 0, s12
	s_subb_u32 s28, 0, s13
	v_add_co_u32 v24, vcc_lo, v21, v29
	v_fmac_f32_e32 v14, 0x4f800000, v23
	v_xor_b32_e32 v30, v24, v29
	v_rcp_f32_e32 v14, v14
	v_mul_f32_e32 v14, 0x5f7ffffc, v14
	v_mul_f32_e32 v23, 0x2f800000, v14
	v_trunc_f32_e32 v23, v23
	v_fmac_f32_e32 v14, 0xcf800000, v23
	v_cvt_u32_f32_e32 v23, v23
	v_cvt_u32_f32_e32 v14, v14
	v_readfirstlane_b32 s11, v23
	v_readfirstlane_b32 s27, v14
	s_mul_i32 s29, s1, s11
	v_add_co_ci_u32_e64 v14, null, v22, v29, vcc_lo
	s_mul_hi_u32 s31, s1, s27
	s_mul_i32 s30, s28, s27
	s_add_i32 s29, s31, s29
	s_mul_i32 s33, s1, s27
	s_add_i32 s29, s29, s30
	s_mul_hi_u32 s31, s27, s33
	s_mul_i32 s35, s27, s29
	s_mul_hi_u32 s34, s11, s33
	s_mul_i32 s30, s11, s33
	s_mul_hi_u32 s33, s27, s29
	s_add_u32 s31, s31, s35
	s_addc_u32 s33, 0, s33
	s_mul_hi_u32 s36, s11, s29
	s_add_u32 s30, s31, s30
	s_mul_i32 s29, s11, s29
	s_addc_u32 s30, s33, s34
	s_addc_u32 s31, s36, 0
	s_add_u32 s29, s30, s29
	s_addc_u32 s30, 0, s31
	s_add_u32 s27, s27, s29
	s_cselect_b32 s29, -1, 0
	s_mul_hi_u32 s31, s1, s27
	s_cmp_lg_u32 s29, 0
	s_mul_i32 s29, s1, s27
	s_addc_u32 s11, s11, s30
	s_mul_i32 s28, s28, s27
	s_mul_i32 s1, s1, s11
	s_mul_hi_u32 s30, s27, s29
	s_add_i32 s1, s31, s1
	s_mul_hi_u32 s31, s11, s29
	s_add_i32 s1, s1, s28
	s_mul_i32 s28, s11, s29
	s_mul_i32 s34, s27, s1
	s_mul_hi_u32 s33, s27, s1
	s_add_u32 s30, s30, s34
	s_addc_u32 s33, 0, s33
	s_mul_hi_u32 s29, s11, s1
	s_add_u32 s28, s30, s28
	s_mul_i32 s1, s11, s1
	s_addc_u32 s28, s33, s31
	s_addc_u32 s29, s29, 0
	s_add_u32 s1, s28, s1
	s_addc_u32 s28, 0, s29
	s_add_u32 s1, s27, s1
	s_cselect_b32 s27, -1, 0
	v_xor_b32_e32 v14, v14, v29
	s_cmp_lg_u32 s27, 0
	v_mul_hi_u32 v37, v30, s1
	s_addc_u32 s11, s11, s28
	v_mad_u64_u32 v[23:24], null, v30, s11, 0
	v_mad_u64_u32 v[25:26], null, v14, s1, 0
	;; [unrolled: 1-line block ×3, first 2 shown]
	v_add_co_u32 v23, vcc_lo, v37, v23
	v_add_co_ci_u32_e64 v24, null, 0, v24, vcc_lo
	v_add_co_u32 v23, vcc_lo, v23, v25
	v_add_co_ci_u32_e32 v23, vcc_lo, v24, v26, vcc_lo
	v_add_co_ci_u32_e32 v24, vcc_lo, 0, v28, vcc_lo
	v_add_co_u32 v23, vcc_lo, v23, v27
	v_add_co_ci_u32_e64 v25, null, 0, v24, vcc_lo
	v_mul_lo_u32 v26, s13, v23
	v_mad_u64_u32 v[23:24], null, s12, v23, 0
	v_mul_lo_u32 v25, s12, v25
	v_sub_co_u32 v23, vcc_lo, v30, v23
	v_add3_u32 v24, v24, v25, v26
	v_cmp_le_u32_e64 s1, s12, v23
	v_sub_nc_u32_e32 v25, v14, v24
	v_sub_co_ci_u32_e64 v14, null, v14, v24, vcc_lo
	v_cndmask_b32_e64 v27, 0, -1, s1
	v_subrev_co_ci_u32_e64 v25, null, s13, v25, vcc_lo
	v_sub_co_u32 v24, vcc_lo, v23, s12
	v_subrev_co_ci_u32_e64 v26, null, 0, v25, vcc_lo
	v_cmp_le_u32_e64 s1, s12, v24
	v_subrev_co_ci_u32_e64 v25, null, s13, v25, vcc_lo
	v_cmp_le_u32_e32 vcc_lo, s13, v14
	v_cndmask_b32_e64 v28, 0, -1, s1
	v_cmp_le_u32_e64 s1, s13, v26
	v_cndmask_b32_e64 v37, 0, -1, vcc_lo
	v_cmp_eq_u32_e32 vcc_lo, s13, v26
	v_cndmask_b32_e64 v30, 0, -1, s1
	v_cmp_eq_u32_e64 s1, s13, v14
	v_cndmask_b32_e32 v28, v30, v28, vcc_lo
	v_sub_co_u32 v30, vcc_lo, v24, s12
	v_subrev_co_ci_u32_e64 v25, null, 0, v25, vcc_lo
	v_cmp_ne_u32_e32 vcc_lo, 0, v28
	v_cndmask_b32_e64 v27, v37, v27, s1
	v_cndmask_b32_e32 v25, v26, v25, vcc_lo
	v_cndmask_b32_e32 v24, v24, v30, vcc_lo
	v_cmp_ne_u32_e32 vcc_lo, 0, v27
	v_cndmask_b32_e32 v23, v23, v24, vcc_lo
	v_cndmask_b32_e32 v14, v14, v25, vcc_lo
	v_xor_b32_e32 v23, v23, v29
	v_xor_b32_e32 v14, v14, v29
	v_sub_co_u32 v23, vcc_lo, v23, v29
	v_sub_co_ci_u32_e64 v24, null, v14, v29, vcc_lo
.LBB0_69:                               ;   in Loop: Header=BB0_43 Depth=1
	s_andn2_saveexec_b32 s1, s26
	s_cbranch_execz .LBB0_71
; %bb.70:                               ;   in Loop: Header=BB0_43 Depth=1
	v_cvt_f32_u32_e32 v14, s2
	s_sub_i32 s11, 0, s2
	v_mov_b32_e32 v24, v13
	v_rcp_iflag_f32_e32 v14, v14
	v_mul_f32_e32 v14, 0x4f7ffffe, v14
	v_cvt_u32_f32_e32 v14, v14
	v_mul_lo_u32 v23, s11, v14
	v_mul_hi_u32 v23, v14, v23
	v_add_nc_u32_e32 v14, v14, v23
	v_mul_hi_u32 v14, v21, v14
	v_mul_lo_u32 v14, v14, s2
	v_sub_nc_u32_e32 v14, v21, v14
	v_subrev_nc_u32_e32 v23, s2, v14
	v_cmp_le_u32_e32 vcc_lo, s2, v14
	v_cndmask_b32_e32 v14, v14, v23, vcc_lo
	v_subrev_nc_u32_e32 v23, s2, v14
	v_cmp_le_u32_e32 vcc_lo, s2, v14
	v_cndmask_b32_e32 v23, v14, v23, vcc_lo
.LBB0_71:                               ;   in Loop: Header=BB0_43 Depth=1
	s_or_b32 exec_lo, exec_lo, s1
	v_cmp_eq_u64_e32 vcc_lo, s[6:7], v[23:24]
	v_cndmask_b32_e64 v14, 0, 1, vcc_lo
	v_sub_co_u32 v21, vcc_lo, v21, v14
	v_subrev_co_ci_u32_e64 v22, null, 0, v22, vcc_lo
	s_branch .LBB0_42
.LBB0_72:                               ;   in Loop: Header=BB0_43 Depth=1
	v_add_co_u32 v19, vcc_lo, v33, v19
	v_add_co_ci_u32_e64 v20, null, v34, v20, vcc_lo
	v_mul_lo_u32 v14, s3, v17
	v_mul_lo_u32 v21, s2, v18
	v_mad_u64_u32 v[17:18], null, s2, v17, 0
	global_load_dword v19, v[19:20], off
	s_mov_b32 s1, exec_lo
	v_add3_u32 v14, v18, v21, v14
                                        ; implicit-def: $vgpr21_vgpr22
	s_waitcnt vmcnt(0)
	v_ashrrev_i32_e32 v20, 31, v19
	v_cmpx_ne_u64_e64 s[6:7], v[19:20]
	s_xor_b32 s1, exec_lo, s1
; %bb.73:                               ;   in Loop: Header=BB0_43 Depth=1
	v_add_co_u32 v21, vcc_lo, v17, v19
	v_add_co_ci_u32_e64 v22, null, v14, v20, vcc_lo
                                        ; implicit-def: $vgpr17_vgpr18
                                        ; implicit-def: $vgpr14
; %bb.74:                               ;   in Loop: Header=BB0_43 Depth=1
	s_andn2_saveexec_b32 s1, s1
	s_cbranch_execz .LBB0_41
; %bb.75:                               ;   in Loop: Header=BB0_43 Depth=1
	v_add_co_u32 v21, vcc_lo, s24, v17
	v_add_co_ci_u32_e64 v22, null, s21, v14, vcc_lo
	s_branch .LBB0_41
.LBB0_76:
	s_or_b32 exec_lo, exec_lo, s23
.LBB0_77:
	s_or_b32 exec_lo, exec_lo, s22
	v_max_f64 v[1:2], v[11:12], v[11:12]
	v_max_f64 v[1:2], v[1:2], -1.0
	v_cmp_gt_f64_e32 vcc_lo, v[9:10], v[1:2]
	v_cndmask_b32_e32 v2, v2, v10, vcc_lo
	v_cndmask_b32_e32 v1, v1, v9, vcc_lo
	v_cmp_gt_f64_e64 s0, v[7:8], v[1:2]
	v_cndmask_b32_e64 v8, v2, v8, s0
	v_cndmask_b32_e64 v7, v1, v7, s0
	v_cndmask_b32_e64 v1, 1, 2, vcc_lo
	v_cmp_gt_f64_e64 s1, v[5:6], v[7:8]
	v_cndmask_b32_e64 v2, v1, 3, s0
	v_ashrrev_i32_e32 v1, 31, v0
	v_lshlrev_b64 v[0:1], 2, v[0:1]
	v_cndmask_b32_e64 v6, v8, v6, s1
	v_cndmask_b32_e64 v5, v7, v5, s1
	;; [unrolled: 1-line block ×3, first 2 shown]
	v_cmp_ngt_f64_e32 vcc_lo, v[3:4], v[5:6]
	v_cndmask_b32_e32 v2, 5, v2, vcc_lo
	v_add_co_u32 v0, vcc_lo, s8, v0
	v_add_co_ci_u32_e64 v1, null, s9, v1, vcc_lo
	global_store_dword v[0:1], v2, off
.LBB0_78:
	s_endpgm
	.section	.rodata,"a",@progbits
	.p2align	6, 0x0
	.amdhsa_kernel _Z6lookupPKiPKdS0_PK16NuclideGridPointPiS2_S0_illiii
		.amdhsa_group_segment_fixed_size 0
		.amdhsa_private_segment_fixed_size 0
		.amdhsa_kernarg_size 352
		.amdhsa_user_sgpr_count 6
		.amdhsa_user_sgpr_private_segment_buffer 1
		.amdhsa_user_sgpr_dispatch_ptr 0
		.amdhsa_user_sgpr_queue_ptr 0
		.amdhsa_user_sgpr_kernarg_segment_ptr 1
		.amdhsa_user_sgpr_dispatch_id 0
		.amdhsa_user_sgpr_flat_scratch_init 0
		.amdhsa_user_sgpr_private_segment_size 0
		.amdhsa_wavefront_size32 1
		.amdhsa_uses_dynamic_stack 0
		.amdhsa_system_sgpr_private_segment_wavefront_offset 0
		.amdhsa_system_sgpr_workgroup_id_x 1
		.amdhsa_system_sgpr_workgroup_id_y 0
		.amdhsa_system_sgpr_workgroup_id_z 0
		.amdhsa_system_sgpr_workgroup_info 0
		.amdhsa_system_vgpr_workitem_id 0
		.amdhsa_next_free_vgpr 55
		.amdhsa_next_free_sgpr 37
		.amdhsa_reserve_vcc 1
		.amdhsa_reserve_flat_scratch 0
		.amdhsa_float_round_mode_32 0
		.amdhsa_float_round_mode_16_64 0
		.amdhsa_float_denorm_mode_32 3
		.amdhsa_float_denorm_mode_16_64 3
		.amdhsa_dx10_clamp 1
		.amdhsa_ieee_mode 1
		.amdhsa_fp16_overflow 0
		.amdhsa_workgroup_processor_mode 1
		.amdhsa_memory_ordered 1
		.amdhsa_forward_progress 1
		.amdhsa_shared_vgpr_count 0
		.amdhsa_exception_fp_ieee_invalid_op 0
		.amdhsa_exception_fp_denorm_src 0
		.amdhsa_exception_fp_ieee_div_zero 0
		.amdhsa_exception_fp_ieee_overflow 0
		.amdhsa_exception_fp_ieee_underflow 0
		.amdhsa_exception_fp_ieee_inexact 0
		.amdhsa_exception_int_div_zero 0
	.end_amdhsa_kernel
	.text
.Lfunc_end0:
	.size	_Z6lookupPKiPKdS0_PK16NuclideGridPointPiS2_S0_illiii, .Lfunc_end0-_Z6lookupPKiPKdS0_PK16NuclideGridPointPiS2_S0_illiii
                                        ; -- End function
	.set _Z6lookupPKiPKdS0_PK16NuclideGridPointPiS2_S0_illiii.num_vgpr, 55
	.set _Z6lookupPKiPKdS0_PK16NuclideGridPointPiS2_S0_illiii.num_agpr, 0
	.set _Z6lookupPKiPKdS0_PK16NuclideGridPointPiS2_S0_illiii.numbered_sgpr, 37
	.set _Z6lookupPKiPKdS0_PK16NuclideGridPointPiS2_S0_illiii.num_named_barrier, 0
	.set _Z6lookupPKiPKdS0_PK16NuclideGridPointPiS2_S0_illiii.private_seg_size, 0
	.set _Z6lookupPKiPKdS0_PK16NuclideGridPointPiS2_S0_illiii.uses_vcc, 1
	.set _Z6lookupPKiPKdS0_PK16NuclideGridPointPiS2_S0_illiii.uses_flat_scratch, 0
	.set _Z6lookupPKiPKdS0_PK16NuclideGridPointPiS2_S0_illiii.has_dyn_sized_stack, 0
	.set _Z6lookupPKiPKdS0_PK16NuclideGridPointPiS2_S0_illiii.has_recursion, 0
	.set _Z6lookupPKiPKdS0_PK16NuclideGridPointPiS2_S0_illiii.has_indirect_call, 0
	.section	.AMDGPU.csdata,"",@progbits
; Kernel info:
; codeLenInByte = 4072
; TotalNumSgprs: 39
; NumVgprs: 55
; ScratchSize: 0
; MemoryBound: 0
; FloatMode: 240
; IeeeMode: 1
; LDSByteSize: 0 bytes/workgroup (compile time only)
; SGPRBlocks: 0
; VGPRBlocks: 6
; NumSGPRsForWavesPerEU: 39
; NumVGPRsForWavesPerEU: 55
; Occupancy: 16
; WaveLimiterHint : 1
; COMPUTE_PGM_RSRC2:SCRATCH_EN: 0
; COMPUTE_PGM_RSRC2:USER_SGPR: 6
; COMPUTE_PGM_RSRC2:TRAP_HANDLER: 0
; COMPUTE_PGM_RSRC2:TGID_X_EN: 1
; COMPUTE_PGM_RSRC2:TGID_Y_EN: 0
; COMPUTE_PGM_RSRC2:TGID_Z_EN: 0
; COMPUTE_PGM_RSRC2:TIDIG_COMP_CNT: 0
	.text
	.p2alignl 6, 3214868480
	.fill 48, 4, 3214868480
	.section	.AMDGPU.gpr_maximums,"",@progbits
	.set amdgpu.max_num_vgpr, 0
	.set amdgpu.max_num_agpr, 0
	.set amdgpu.max_num_sgpr, 0
	.text
	.type	__hip_cuid_b0ca43f0d4fb8c84,@object ; @__hip_cuid_b0ca43f0d4fb8c84
	.section	.bss,"aw",@nobits
	.globl	__hip_cuid_b0ca43f0d4fb8c84
__hip_cuid_b0ca43f0d4fb8c84:
	.byte	0                               ; 0x0
	.size	__hip_cuid_b0ca43f0d4fb8c84, 1

	.ident	"AMD clang version 22.0.0git (https://github.com/RadeonOpenCompute/llvm-project roc-7.2.4 26084 f58b06dce1f9c15707c5f808fd002e18c2accf7e)"
	.section	".note.GNU-stack","",@progbits
	.addrsig
	.addrsig_sym __hip_cuid_b0ca43f0d4fb8c84
	.amdgpu_metadata
---
amdhsa.kernels:
  - .args:
      - .actual_access:  read_only
        .address_space:  global
        .offset:         0
        .size:           8
        .value_kind:     global_buffer
      - .actual_access:  read_only
        .address_space:  global
        .offset:         8
        .size:           8
        .value_kind:     global_buffer
      - .actual_access:  read_only
        .address_space:  global
        .offset:         16
        .size:           8
        .value_kind:     global_buffer
      - .actual_access:  read_only
        .address_space:  global
        .offset:         24
        .size:           8
        .value_kind:     global_buffer
      - .actual_access:  write_only
        .address_space:  global
        .offset:         32
        .size:           8
        .value_kind:     global_buffer
      - .actual_access:  read_only
        .address_space:  global
        .offset:         40
        .size:           8
        .value_kind:     global_buffer
      - .actual_access:  read_only
        .address_space:  global
        .offset:         48
        .size:           8
        .value_kind:     global_buffer
      - .offset:         56
        .size:           4
        .value_kind:     by_value
      - .offset:         64
        .size:           8
        .value_kind:     by_value
      - .offset:         72
        .size:           8
        .value_kind:     by_value
      - .offset:         80
        .size:           4
        .value_kind:     by_value
      - .offset:         84
        .size:           4
        .value_kind:     by_value
      - .offset:         88
        .size:           4
        .value_kind:     by_value
      - .offset:         96
        .size:           4
        .value_kind:     hidden_block_count_x
      - .offset:         100
        .size:           4
        .value_kind:     hidden_block_count_y
      - .offset:         104
        .size:           4
        .value_kind:     hidden_block_count_z
      - .offset:         108
        .size:           2
        .value_kind:     hidden_group_size_x
      - .offset:         110
        .size:           2
        .value_kind:     hidden_group_size_y
      - .offset:         112
        .size:           2
        .value_kind:     hidden_group_size_z
      - .offset:         114
        .size:           2
        .value_kind:     hidden_remainder_x
      - .offset:         116
        .size:           2
        .value_kind:     hidden_remainder_y
      - .offset:         118
        .size:           2
        .value_kind:     hidden_remainder_z
      - .offset:         136
        .size:           8
        .value_kind:     hidden_global_offset_x
      - .offset:         144
        .size:           8
        .value_kind:     hidden_global_offset_y
      - .offset:         152
        .size:           8
        .value_kind:     hidden_global_offset_z
      - .offset:         160
        .size:           2
        .value_kind:     hidden_grid_dims
    .group_segment_fixed_size: 0
    .kernarg_segment_align: 8
    .kernarg_segment_size: 352
    .language:       OpenCL C
    .language_version:
      - 2
      - 0
    .max_flat_workgroup_size: 1024
    .name:           _Z6lookupPKiPKdS0_PK16NuclideGridPointPiS2_S0_illiii
    .private_segment_fixed_size: 0
    .sgpr_count:     39
    .sgpr_spill_count: 0
    .symbol:         _Z6lookupPKiPKdS0_PK16NuclideGridPointPiS2_S0_illiii.kd
    .uniform_work_group_size: 1
    .uses_dynamic_stack: false
    .vgpr_count:     55
    .vgpr_spill_count: 0
    .wavefront_size: 32
    .workgroup_processor_mode: 1
amdhsa.target:   amdgcn-amd-amdhsa--gfx1030
amdhsa.version:
  - 1
  - 2
...

	.end_amdgpu_metadata
